;; amdgpu-corpus repo=ROCm/rocFFT kind=compiled arch=gfx950 opt=O3
	.text
	.amdgcn_target "amdgcn-amd-amdhsa--gfx950"
	.amdhsa_code_object_version 6
	.protected	fft_rtc_back_len1320_factors_11_2_3_5_4_wgs_165_tpt_165_dp_op_CI_CI_unitstride_sbrr_C2R_dirReg ; -- Begin function fft_rtc_back_len1320_factors_11_2_3_5_4_wgs_165_tpt_165_dp_op_CI_CI_unitstride_sbrr_C2R_dirReg
	.globl	fft_rtc_back_len1320_factors_11_2_3_5_4_wgs_165_tpt_165_dp_op_CI_CI_unitstride_sbrr_C2R_dirReg
	.p2align	8
	.type	fft_rtc_back_len1320_factors_11_2_3_5_4_wgs_165_tpt_165_dp_op_CI_CI_unitstride_sbrr_C2R_dirReg,@function
fft_rtc_back_len1320_factors_11_2_3_5_4_wgs_165_tpt_165_dp_op_CI_CI_unitstride_sbrr_C2R_dirReg: ; @fft_rtc_back_len1320_factors_11_2_3_5_4_wgs_165_tpt_165_dp_op_CI_CI_unitstride_sbrr_C2R_dirReg
; %bb.0:
	s_load_dwordx4 s[4:7], s[0:1], 0x58
	s_load_dwordx4 s[8:11], s[0:1], 0x0
	;; [unrolled: 1-line block ×3, first 2 shown]
	v_mul_u32_u24_e32 v1, 0x18e, v0
	v_add_u32_sdwa v6, s2, v1 dst_sel:DWORD dst_unused:UNUSED_PAD src0_sel:DWORD src1_sel:WORD_1
	v_mov_b32_e32 v4, 0
	s_waitcnt lgkmcnt(0)
	v_cmp_lt_u64_e64 s[2:3], s[10:11], 2
	v_mov_b32_e32 v7, v4
	s_and_b64 vcc, exec, s[2:3]
	v_mov_b64_e32 v[2:3], 0
	s_cbranch_vccnz .LBB0_8
; %bb.1:
	s_load_dwordx2 s[2:3], s[0:1], 0x10
	s_add_u32 s16, s14, 8
	s_addc_u32 s17, s15, 0
	s_add_u32 s18, s12, 8
	s_addc_u32 s19, s13, 0
	s_waitcnt lgkmcnt(0)
	s_add_u32 s20, s2, 8
	v_mov_b64_e32 v[2:3], 0
	s_addc_u32 s21, s3, 0
	s_mov_b64 s[22:23], 1
	v_mov_b64_e32 v[60:61], v[2:3]
.LBB0_2:                                ; =>This Inner Loop Header: Depth=1
	s_load_dwordx2 s[24:25], s[20:21], 0x0
                                        ; implicit-def: $vgpr62_vgpr63
	s_waitcnt lgkmcnt(0)
	v_or_b32_e32 v5, s25, v7
	v_cmp_ne_u64_e32 vcc, 0, v[4:5]
	s_and_saveexec_b64 s[2:3], vcc
	s_xor_b64 s[26:27], exec, s[2:3]
	s_cbranch_execz .LBB0_4
; %bb.3:                                ;   in Loop: Header=BB0_2 Depth=1
	v_cvt_f32_u32_e32 v1, s24
	v_cvt_f32_u32_e32 v5, s25
	s_sub_u32 s2, 0, s24
	s_subb_u32 s3, 0, s25
	v_fmac_f32_e32 v1, 0x4f800000, v5
	v_rcp_f32_e32 v1, v1
	s_nop 0
	v_mul_f32_e32 v1, 0x5f7ffffc, v1
	v_mul_f32_e32 v5, 0x2f800000, v1
	v_trunc_f32_e32 v5, v5
	v_fmac_f32_e32 v1, 0xcf800000, v5
	v_cvt_u32_f32_e32 v5, v5
	v_cvt_u32_f32_e32 v1, v1
	v_mul_lo_u32 v8, s2, v5
	v_mul_hi_u32 v10, s2, v1
	v_mul_lo_u32 v9, s3, v1
	v_add_u32_e32 v10, v10, v8
	v_mul_lo_u32 v12, s2, v1
	v_add_u32_e32 v13, v10, v9
	v_mul_hi_u32 v8, v1, v12
	v_mul_hi_u32 v11, v1, v13
	v_mul_lo_u32 v10, v1, v13
	v_mov_b32_e32 v9, v4
	v_lshl_add_u64 v[8:9], v[8:9], 0, v[10:11]
	v_mul_hi_u32 v11, v5, v12
	v_mul_lo_u32 v12, v5, v12
	v_add_co_u32_e32 v8, vcc, v8, v12
	v_mul_hi_u32 v10, v5, v13
	s_nop 0
	v_addc_co_u32_e32 v8, vcc, v9, v11, vcc
	v_mov_b32_e32 v9, v4
	s_nop 0
	v_addc_co_u32_e32 v11, vcc, 0, v10, vcc
	v_mul_lo_u32 v10, v5, v13
	v_lshl_add_u64 v[8:9], v[8:9], 0, v[10:11]
	v_add_co_u32_e32 v1, vcc, v1, v8
	v_mul_lo_u32 v10, s2, v1
	s_nop 0
	v_addc_co_u32_e32 v5, vcc, v5, v9, vcc
	v_mul_lo_u32 v8, s2, v5
	v_mul_hi_u32 v9, s2, v1
	v_add_u32_e32 v8, v9, v8
	v_mul_lo_u32 v9, s3, v1
	v_add_u32_e32 v12, v8, v9
	v_mul_hi_u32 v14, v5, v10
	v_mul_lo_u32 v15, v5, v10
	v_mul_hi_u32 v9, v1, v12
	v_mul_lo_u32 v8, v1, v12
	v_mul_hi_u32 v10, v1, v10
	v_mov_b32_e32 v11, v4
	v_lshl_add_u64 v[8:9], v[10:11], 0, v[8:9]
	v_add_co_u32_e32 v8, vcc, v8, v15
	v_mul_hi_u32 v13, v5, v12
	s_nop 0
	v_addc_co_u32_e32 v8, vcc, v9, v14, vcc
	v_mul_lo_u32 v10, v5, v12
	s_nop 0
	v_addc_co_u32_e32 v11, vcc, 0, v13, vcc
	v_mov_b32_e32 v9, v4
	v_lshl_add_u64 v[8:9], v[8:9], 0, v[10:11]
	v_add_co_u32_e32 v1, vcc, v1, v8
	v_mul_hi_u32 v10, v6, v1
	s_nop 0
	v_addc_co_u32_e32 v5, vcc, v5, v9, vcc
	v_mad_u64_u32 v[8:9], s[2:3], v6, v5, 0
	v_mov_b32_e32 v11, v4
	v_lshl_add_u64 v[8:9], v[10:11], 0, v[8:9]
	v_mad_u64_u32 v[12:13], s[2:3], v7, v1, 0
	v_add_co_u32_e32 v1, vcc, v8, v12
	v_mad_u64_u32 v[10:11], s[2:3], v7, v5, 0
	s_nop 0
	v_addc_co_u32_e32 v8, vcc, v9, v13, vcc
	v_mov_b32_e32 v9, v4
	s_nop 0
	v_addc_co_u32_e32 v11, vcc, 0, v11, vcc
	v_lshl_add_u64 v[8:9], v[8:9], 0, v[10:11]
	v_mul_lo_u32 v1, s25, v8
	v_mul_lo_u32 v5, s24, v9
	v_mad_u64_u32 v[10:11], s[2:3], s24, v8, 0
	v_add3_u32 v1, v11, v5, v1
	v_sub_u32_e32 v5, v7, v1
	v_mov_b32_e32 v11, s25
	v_sub_co_u32_e32 v14, vcc, v6, v10
	v_lshl_add_u64 v[12:13], v[8:9], 0, 1
	s_nop 0
	v_subb_co_u32_e64 v5, s[2:3], v5, v11, vcc
	v_subrev_co_u32_e64 v10, s[2:3], s24, v14
	v_subb_co_u32_e32 v1, vcc, v7, v1, vcc
	s_nop 0
	v_subbrev_co_u32_e64 v5, s[2:3], 0, v5, s[2:3]
	v_cmp_le_u32_e64 s[2:3], s25, v5
	v_cmp_le_u32_e32 vcc, s25, v1
	s_nop 0
	v_cndmask_b32_e64 v11, 0, -1, s[2:3]
	v_cmp_le_u32_e64 s[2:3], s24, v10
	s_nop 1
	v_cndmask_b32_e64 v10, 0, -1, s[2:3]
	v_cmp_eq_u32_e64 s[2:3], s25, v5
	s_nop 1
	v_cndmask_b32_e64 v5, v11, v10, s[2:3]
	v_lshl_add_u64 v[10:11], v[8:9], 0, 2
	v_cmp_ne_u32_e64 s[2:3], 0, v5
	s_nop 1
	v_cndmask_b32_e64 v5, v13, v11, s[2:3]
	v_cndmask_b32_e64 v11, 0, -1, vcc
	v_cmp_le_u32_e32 vcc, s24, v14
	s_nop 1
	v_cndmask_b32_e64 v13, 0, -1, vcc
	v_cmp_eq_u32_e32 vcc, s25, v1
	s_nop 1
	v_cndmask_b32_e32 v1, v11, v13, vcc
	v_cmp_ne_u32_e32 vcc, 0, v1
	v_cndmask_b32_e64 v1, v12, v10, s[2:3]
	s_nop 0
	v_cndmask_b32_e32 v63, v9, v5, vcc
	v_cndmask_b32_e32 v62, v8, v1, vcc
.LBB0_4:                                ;   in Loop: Header=BB0_2 Depth=1
	s_andn2_saveexec_b64 s[2:3], s[26:27]
	s_cbranch_execz .LBB0_6
; %bb.5:                                ;   in Loop: Header=BB0_2 Depth=1
	v_cvt_f32_u32_e32 v1, s24
	s_sub_i32 s26, 0, s24
	v_mov_b32_e32 v63, v4
	v_rcp_iflag_f32_e32 v1, v1
	s_nop 0
	v_mul_f32_e32 v1, 0x4f7ffffe, v1
	v_cvt_u32_f32_e32 v1, v1
	v_mul_lo_u32 v5, s26, v1
	v_mul_hi_u32 v5, v1, v5
	v_add_u32_e32 v1, v1, v5
	v_mul_hi_u32 v1, v6, v1
	v_mul_lo_u32 v5, v1, s24
	v_sub_u32_e32 v5, v6, v5
	v_add_u32_e32 v8, 1, v1
	v_subrev_u32_e32 v9, s24, v5
	v_cmp_le_u32_e32 vcc, s24, v5
	s_nop 1
	v_cndmask_b32_e32 v5, v5, v9, vcc
	v_cndmask_b32_e32 v1, v1, v8, vcc
	v_add_u32_e32 v8, 1, v1
	v_cmp_le_u32_e32 vcc, s24, v5
	s_nop 1
	v_cndmask_b32_e32 v62, v1, v8, vcc
.LBB0_6:                                ;   in Loop: Header=BB0_2 Depth=1
	s_or_b64 exec, exec, s[2:3]
	v_mad_u64_u32 v[8:9], s[2:3], v62, s24, 0
	s_load_dwordx2 s[2:3], s[18:19], 0x0
	v_mul_lo_u32 v1, v63, s24
	v_mul_lo_u32 v5, v62, s25
	s_load_dwordx2 s[24:25], s[16:17], 0x0
	s_add_u32 s22, s22, 1
	v_add3_u32 v1, v9, v5, v1
	v_sub_co_u32_e32 v5, vcc, v6, v8
	s_addc_u32 s23, s23, 0
	s_nop 0
	v_subb_co_u32_e32 v1, vcc, v7, v1, vcc
	s_add_u32 s16, s16, 8
	s_waitcnt lgkmcnt(0)
	v_mul_lo_u32 v6, s2, v1
	v_mul_lo_u32 v7, s3, v5
	v_mad_u64_u32 v[2:3], s[2:3], s2, v5, v[2:3]
	s_addc_u32 s17, s17, 0
	v_add3_u32 v3, v7, v3, v6
	v_mul_lo_u32 v1, s24, v1
	v_mul_lo_u32 v6, s25, v5
	v_mad_u64_u32 v[60:61], s[2:3], s24, v5, v[60:61]
	s_add_u32 s18, s18, 8
	v_add3_u32 v61, v6, v61, v1
	s_addc_u32 s19, s19, 0
	v_mov_b64_e32 v[6:7], s[10:11]
	s_add_u32 s20, s20, 8
	v_cmp_ge_u64_e32 vcc, s[22:23], v[6:7]
	s_addc_u32 s21, s21, 0
	s_cbranch_vccnz .LBB0_9
; %bb.7:                                ;   in Loop: Header=BB0_2 Depth=1
	v_mov_b64_e32 v[6:7], v[62:63]
	s_branch .LBB0_2
.LBB0_8:
	v_mov_b64_e32 v[60:61], v[2:3]
	v_mov_b64_e32 v[62:63], v[6:7]
.LBB0_9:
	s_load_dwordx2 s[18:19], s[0:1], 0x28
	s_lshl_b64 s[16:17], s[10:11], 3
	s_add_u32 s2, s14, s16
	s_addc_u32 s3, s15, s17
                                        ; implicit-def: $vgpr64
	s_waitcnt lgkmcnt(0)
	v_cmp_gt_u64_e64 s[0:1], s[18:19], v[62:63]
	v_cmp_le_u64_e32 vcc, s[18:19], v[62:63]
	s_and_saveexec_b64 s[10:11], vcc
	s_xor_b64 s[10:11], exec, s[10:11]
; %bb.10:
	s_mov_b32 s14, 0x18d3019
	v_mul_hi_u32 v1, v0, s14
	v_mul_u32_u24_e32 v1, 0xa5, v1
	v_sub_u32_e32 v64, v0, v1
                                        ; implicit-def: $vgpr0
                                        ; implicit-def: $vgpr2_vgpr3
; %bb.11:
	s_or_saveexec_b64 s[10:11], s[10:11]
	s_load_dwordx2 s[2:3], s[2:3], 0x0
	s_xor_b64 exec, exec, s[10:11]
	s_cbranch_execz .LBB0_15
; %bb.12:
	s_add_u32 s12, s12, s16
	s_addc_u32 s13, s13, s17
	s_load_dwordx2 s[12:13], s[12:13], 0x0
	s_mov_b32 s14, 0x18d3019
	s_waitcnt lgkmcnt(0)
	v_mul_lo_u32 v1, s13, v62
	v_mul_lo_u32 v6, s12, v63
	v_mad_u64_u32 v[4:5], s[12:13], s12, v62, 0
	v_add3_u32 v5, v5, v6, v1
	v_mul_hi_u32 v1, v0, s14
	v_mul_u32_u24_e32 v1, 0xa5, v1
	v_sub_u32_e32 v64, v0, v1
	v_lshl_add_u64 v[0:1], v[4:5], 4, s[4:5]
	v_lshl_add_u64 v[2:3], v[2:3], 4, v[0:1]
	v_lshlrev_b32_e32 v0, 4, v64
	v_mov_b32_e32 v1, 0
	v_lshl_add_u64 v[28:29], v[2:3], 0, v[0:1]
	s_movk_i32 s4, 0x1000
	v_add_co_u32_e32 v20, vcc, s4, v28
	s_movk_i32 s4, 0x2000
	s_nop 0
	v_addc_co_u32_e32 v21, vcc, 0, v29, vcc
	v_add_co_u32_e32 v30, vcc, s4, v28
	s_movk_i32 s4, 0x3000
	s_nop 0
	v_addc_co_u32_e32 v31, vcc, 0, v29, vcc
	v_add_co_u32_e32 v36, vcc, s4, v28
	global_load_dwordx4 v[4:7], v[28:29], off
	global_load_dwordx4 v[8:11], v[28:29], off offset:2640
	v_addc_co_u32_e32 v37, vcc, 0, v29, vcc
	v_add_co_u32_e32 v38, vcc, 0x4000, v28
	global_load_dwordx4 v[12:15], v[20:21], off offset:1184
	global_load_dwordx4 v[16:19], v[20:21], off offset:3824
	s_nop 0
	global_load_dwordx4 v[20:23], v[30:31], off offset:2368
	global_load_dwordx4 v[24:27], v[36:37], off offset:912
	v_addc_co_u32_e32 v39, vcc, 0, v29, vcc
	global_load_dwordx4 v[28:31], v[36:37], off offset:3552
	global_load_dwordx4 v[32:35], v[38:39], off offset:2096
	s_movk_i32 s4, 0xa4
	v_add_u32_e32 v0, 0, v0
	v_cmp_eq_u32_e32 vcc, s4, v64
	s_waitcnt vmcnt(7)
	ds_write_b128 v0, v[4:7]
	s_waitcnt vmcnt(6)
	ds_write_b128 v0, v[8:11] offset:2640
	s_waitcnt vmcnt(5)
	ds_write_b128 v0, v[12:15] offset:5280
	;; [unrolled: 2-line block ×7, first 2 shown]
	s_and_saveexec_b64 s[4:5], vcc
	s_cbranch_execz .LBB0_14
; %bb.13:
	v_add_co_u32_e32 v2, vcc, 0x5000, v2
	v_mov_b32_e32 v64, 0xa4
	s_nop 0
	v_addc_co_u32_e32 v3, vcc, 0, v3, vcc
	global_load_dwordx4 v[2:5], v[2:3], off offset:640
	s_waitcnt vmcnt(0)
	ds_write_b128 v1, v[2:5] offset:21120
.LBB0_14:
	s_or_b64 exec, exec, s[4:5]
.LBB0_15:
	s_or_b64 exec, exec, s[10:11]
	v_lshlrev_b32_e32 v0, 4, v64
	v_add_u32_e32 v150, 0, v0
	s_waitcnt lgkmcnt(0)
	s_barrier
	v_sub_u32_e32 v16, 0, v0
	ds_read_b64 v[2:3], v150
	ds_read_b64 v[4:5], v16 offset:21120
	s_add_u32 s4, s8, 0x51d0
	s_addc_u32 s5, s9, 0
	v_cmp_ne_u32_e32 vcc, 0, v64
                                        ; implicit-def: $vgpr0_vgpr1
	s_waitcnt lgkmcnt(0)
	v_add_f64 v[12:13], v[2:3], v[4:5]
	v_add_f64 v[14:15], v[2:3], -v[4:5]
	s_and_saveexec_b64 s[10:11], vcc
	s_xor_b64 s[10:11], exec, s[10:11]
	s_cbranch_execz .LBB0_17
; %bb.16:
	v_mov_b32_e32 v65, 0
	v_lshl_add_u64 v[0:1], v[64:65], 4, s[4:5]
	global_load_dwordx4 v[6:9], v[0:1], off
	ds_read_b64 v[0:1], v16 offset:21128
	ds_read_b64 v[10:11], v150 offset:8
	v_add_f64 v[12:13], v[2:3], v[4:5]
	v_add_f64 v[4:5], v[2:3], -v[4:5]
	s_waitcnt lgkmcnt(0)
	v_add_f64 v[18:19], v[0:1], v[10:11]
	v_add_f64 v[2:3], v[10:11], -v[0:1]
	s_waitcnt vmcnt(0)
	v_fma_f64 v[14:15], v[18:19], v[8:9], v[2:3]
	v_fma_f64 v[0:1], -v[4:5], v[8:9], v[12:13]
	v_fma_f64 v[2:3], v[18:19], v[8:9], -v[2:3]
	v_fma_f64 v[10:11], v[4:5], v[8:9], v[12:13]
	v_fmac_f64_e32 v[0:1], v[18:19], v[6:7]
	v_fmac_f64_e32 v[2:3], v[4:5], v[6:7]
	v_fma_f64 v[12:13], -v[18:19], v[6:7], v[10:11]
	v_fmac_f64_e32 v[14:15], v[4:5], v[6:7]
	ds_write_b128 v16, v[0:3] offset:21120
	v_mov_b64_e32 v[0:1], v[64:65]
.LBB0_17:
	s_andn2_saveexec_b64 s[10:11], s[10:11]
	s_cbranch_execz .LBB0_19
; %bb.18:
	v_mov_b32_e32 v4, 0
	ds_read_b128 v[0:3], v4 offset:10560
	s_waitcnt lgkmcnt(0)
	v_add_f64 v[0:1], v[0:1], v[0:1]
	v_mul_f64 v[2:3], v[2:3], -2.0
	ds_write_b128 v4, v[0:3] offset:10560
	v_mov_b64_e32 v[0:1], 0
.LBB0_19:
	s_or_b64 exec, exec, s[10:11]
	v_lshl_add_u64 v[0:1], v[0:1], 4, s[4:5]
	global_load_dwordx4 v[4:7], v[0:1], off offset:2640
	v_add_u32_e32 v66, 0x14a, v64
	v_mov_b32_e32 v67, 0
	v_lshl_add_u64 v[0:1], v[66:67], 4, s[4:5]
	global_load_dwordx4 v[0:3], v[0:1], off
	v_add_u32_e32 v68, 0x1ef, v64
	v_mov_b32_e32 v69, v67
	v_lshl_add_u64 v[8:9], v[68:69], 4, s[4:5]
	global_load_dwordx4 v[8:11], v[8:9], off
	ds_write_b128 v150, v[12:15]
	ds_read_b128 v[12:15], v150 offset:2640
	ds_read_b128 v[18:21], v16 offset:18480
	v_lshl_add_u32 v65, v66, 4, 0
	v_lshl_add_u32 v67, v68, 4, 0
	s_mov_b32 s10, 0x8eee2c13
	s_mov_b32 s4, 0xd9c712b6
	s_waitcnt lgkmcnt(0)
	v_add_f64 v[22:23], v[12:13], v[18:19]
	v_add_f64 v[24:25], v[20:21], v[14:15]
	v_add_f64 v[26:27], v[12:13], -v[18:19]
	v_add_f64 v[12:13], v[14:15], -v[20:21]
	s_mov_b32 s11, 0xbfed1bb4
	s_mov_b32 s14, 0xbb3a28a1
	;; [unrolled: 1-line block ×24, first 2 shown]
	s_movk_i32 s22, 0x78
	v_cmp_gt_u32_e32 vcc, s22, v64
	s_waitcnt vmcnt(2)
	v_fma_f64 v[28:29], v[26:27], v[6:7], v[22:23]
	v_fma_f64 v[14:15], v[24:25], v[6:7], v[12:13]
	v_fma_f64 v[18:19], -v[26:27], v[6:7], v[22:23]
	v_fma_f64 v[20:21], v[24:25], v[6:7], -v[12:13]
	v_fma_f64 v[12:13], -v[24:25], v[4:5], v[28:29]
	v_fmac_f64_e32 v[14:15], v[26:27], v[4:5]
	v_fmac_f64_e32 v[18:19], v[24:25], v[4:5]
	;; [unrolled: 1-line block ×3, first 2 shown]
	ds_write_b128 v150, v[12:15] offset:2640
	ds_write_b128 v16, v[18:21] offset:18480
	ds_read_b128 v[4:7], v65
	ds_read_b128 v[12:15], v16 offset:15840
	s_waitcnt lgkmcnt(0)
	v_add_f64 v[18:19], v[4:5], v[12:13]
	v_add_f64 v[20:21], v[14:15], v[6:7]
	v_add_f64 v[22:23], v[4:5], -v[12:13]
	v_add_f64 v[6:7], v[6:7], -v[14:15]
	s_waitcnt vmcnt(1)
	v_fma_f64 v[24:25], v[22:23], v[2:3], v[18:19]
	v_fma_f64 v[4:5], v[20:21], v[2:3], v[6:7]
	v_fma_f64 v[12:13], -v[22:23], v[2:3], v[18:19]
	v_fma_f64 v[14:15], v[20:21], v[2:3], -v[6:7]
	v_fma_f64 v[2:3], -v[20:21], v[0:1], v[24:25]
	v_fmac_f64_e32 v[4:5], v[22:23], v[0:1]
	v_fmac_f64_e32 v[12:13], v[20:21], v[0:1]
	;; [unrolled: 1-line block ×3, first 2 shown]
	ds_write_b128 v65, v[2:5]
	ds_write_b128 v16, v[12:15] offset:15840
	ds_read_b128 v[0:3], v67
	ds_read_b128 v[4:7], v16 offset:13200
	s_waitcnt lgkmcnt(0)
	v_add_f64 v[12:13], v[0:1], v[4:5]
	v_add_f64 v[14:15], v[6:7], v[2:3]
	v_add_f64 v[18:19], v[0:1], -v[4:5]
	v_add_f64 v[0:1], v[2:3], -v[6:7]
	s_waitcnt vmcnt(0)
	v_fma_f64 v[20:21], v[18:19], v[10:11], v[12:13]
	v_fma_f64 v[2:3], v[14:15], v[10:11], v[0:1]
	v_fma_f64 v[4:5], -v[18:19], v[10:11], v[12:13]
	v_fma_f64 v[6:7], v[14:15], v[10:11], -v[0:1]
	v_fma_f64 v[0:1], -v[14:15], v[8:9], v[20:21]
	v_fmac_f64_e32 v[2:3], v[18:19], v[8:9]
	v_fmac_f64_e32 v[4:5], v[14:15], v[8:9]
	;; [unrolled: 1-line block ×3, first 2 shown]
	ds_write_b128 v67, v[0:3]
	ds_write_b128 v16, v[4:7] offset:13200
	s_waitcnt lgkmcnt(0)
	s_barrier
	s_barrier
	ds_read_b128 v[20:23], v150
	ds_read_b128 v[24:27], v150 offset:1920
	ds_read_b128 v[4:7], v150 offset:19200
	;; [unrolled: 1-line block ×6, first 2 shown]
	s_waitcnt lgkmcnt(4)
	v_add_f64 v[80:81], v[26:27], -v[6:7]
	v_add_f64 v[70:71], v[24:25], v[4:5]
	v_mul_f64 v[92:93], v[80:81], s[10:11]
	s_waitcnt lgkmcnt(1)
	v_add_f64 v[82:83], v[30:31], -v[10:11]
	v_add_f64 v[72:73], v[28:29], v[8:9]
	s_waitcnt lgkmcnt(0)
	v_add_f64 v[88:89], v[34:35], -v[18:19]
	v_mul_f64 v[94:95], v[82:83], s[14:15]
	v_fma_f64 v[0:1], v[70:71], s[4:5], -v[92:93]
	v_add_f64 v[76:77], v[32:33], v[16:17]
	v_mul_f64 v[98:99], v[88:89], s[18:19]
	v_fma_f64 v[2:3], v[72:73], s[12:13], -v[94:95]
	v_add_f64 v[0:1], v[20:21], v[0:1]
	v_fma_f64 v[36:37], v[76:77], s[16:17], -v[98:99]
	v_add_f64 v[0:1], v[2:3], v[0:1]
	v_add_f64 v[0:1], v[36:37], v[0:1]
	ds_read_b128 v[36:39], v150 offset:13440
	ds_read_b128 v[40:43], v150 offset:7680
	v_add_f64 v[74:75], v[26:27], v[6:7]
	ds_read_b128 v[44:47], v150 offset:9600
	ds_read_b128 v[48:51], v150 offset:11520
	v_add_f64 v[86:87], v[24:25], -v[4:5]
	v_add_f64 v[78:79], v[30:31], v[10:11]
	v_mul_f64 v[100:101], v[74:75], s[4:5]
	v_add_f64 v[90:91], v[28:29], -v[8:9]
	v_add_f64 v[84:85], v[34:35], v[18:19]
	v_mul_f64 v[102:103], v[78:79], s[12:13]
	v_fma_f64 v[12:13], s[10:11], v[86:87], v[100:101]
	v_fma_f64 v[14:15], s[14:15], v[90:91], v[102:103]
	v_add_f64 v[12:13], v[22:23], v[12:13]
	v_add_f64 v[96:97], v[32:33], -v[16:17]
	v_mul_f64 v[106:107], v[84:85], s[16:17]
	s_waitcnt lgkmcnt(2)
	v_add_f64 v[112:113], v[42:43], -v[38:39]
	v_add_f64 v[2:3], v[14:15], v[12:13]
	v_fma_f64 v[12:13], s[18:19], v[96:97], v[106:107]
	v_add_f64 v[104:105], v[40:41], v[36:37]
	v_mul_f64 v[120:121], v[112:113], s[30:31]
	v_add_f64 v[110:111], v[42:43], v[38:39]
	v_add_f64 v[2:3], v[12:13], v[2:3]
	v_fma_f64 v[12:13], v[104:105], s[20:21], -v[120:121]
	v_add_f64 v[118:119], v[40:41], -v[36:37]
	v_mul_f64 v[126:127], v[110:111], s[20:21]
	s_waitcnt lgkmcnt(0)
	v_add_f64 v[116:117], v[46:47], -v[50:51]
	v_add_f64 v[0:1], v[12:13], v[0:1]
	v_fma_f64 v[12:13], s[30:31], v[118:119], v[126:127]
	v_add_f64 v[108:109], v[44:45], v[48:49]
	v_mul_f64 v[124:125], v[116:117], s[34:35]
	v_add_f64 v[114:115], v[46:47], v[50:51]
	v_add_f64 v[2:3], v[12:13], v[2:3]
	v_fma_f64 v[12:13], v[108:109], s[26:27], -v[124:125]
	v_add_f64 v[122:123], v[44:45], -v[48:49]
	v_mul_f64 v[128:129], v[114:115], s[26:27]
	v_add_f64 v[0:1], v[12:13], v[0:1]
	v_fma_f64 v[12:13], s[34:35], v[122:123], v[128:129]
	v_mul_f64 v[130:131], v[80:81], s[24:25]
	v_add_f64 v[2:3], v[12:13], v[2:3]
	v_fma_f64 v[12:13], v[70:71], s[20:21], -v[130:131]
	v_mul_f64 v[132:133], v[82:83], s[18:19]
	v_add_f64 v[12:13], v[20:21], v[12:13]
	v_fma_f64 v[14:15], v[72:73], s[16:17], -v[132:133]
	v_mul_f64 v[138:139], v[74:75], s[20:21]
	v_add_f64 v[12:13], v[14:15], v[12:13]
	v_fma_f64 v[14:15], s[24:25], v[86:87], v[138:139]
	v_mul_f64 v[142:143], v[78:79], s[16:17]
	v_add_f64 v[14:15], v[22:23], v[14:15]
	v_fma_f64 v[52:53], s[18:19], v[90:91], v[142:143]
	v_mul_f64 v[134:135], v[88:89], s[36:37]
	v_add_f64 v[14:15], v[52:53], v[14:15]
	v_fma_f64 v[52:53], v[76:77], s[4:5], -v[134:135]
	v_mul_f64 v[144:145], v[84:85], s[4:5]
	v_add_f64 v[12:13], v[52:53], v[12:13]
	v_fma_f64 v[52:53], s[36:37], v[96:97], v[144:145]
	v_mul_f64 v[136:137], v[112:113], s[28:29]
	v_add_f64 v[14:15], v[52:53], v[14:15]
	v_fma_f64 v[52:53], v[104:105], s[26:27], -v[136:137]
	;; [unrolled: 6-line block ×3, first 2 shown]
	v_mul_f64 v[148:149], v[114:115], s[12:13]
	v_add_f64 v[12:13], v[52:53], v[12:13]
	v_fma_f64 v[52:53], s[14:15], v[122:123], v[148:149]
	v_add_f64 v[14:15], v[52:53], v[14:15]
	s_barrier
	s_and_saveexec_b64 s[22:23], vcc
	s_cbranch_execz .LBB0_21
; %bb.20:
	v_mul_f64 v[160:161], v[90:91], s[18:19]
	v_mul_f64 v[162:163], v[96:97], s[18:19]
	s_mov_b32 s19, 0xbfd207e7
	v_mul_f64 v[156:157], v[86:87], s[18:19]
	v_mul_f64 v[152:153], v[90:91], s[34:35]
	v_fma_f64 v[158:159], s[16:17], v[74:75], v[156:157]
	v_fma_f64 v[156:157], v[74:75], s[16:17], -v[156:157]
	v_mul_f64 v[58:59], v[96:97], s[14:15]
	v_fma_f64 v[154:155], s[26:27], v[78:79], v[152:153]
	v_add_f64 v[158:159], v[22:23], v[158:159]
	v_fma_f64 v[152:153], v[78:79], s[26:27], -v[152:153]
	v_add_f64 v[156:157], v[22:23], v[156:157]
	v_mul_f64 v[56:57], v[118:119], s[36:37]
	v_fma_f64 v[54:55], s[12:13], v[84:85], v[58:59]
	v_add_f64 v[154:155], v[154:155], v[158:159]
	v_mul_f64 v[158:159], v[80:81], s[18:19]
	v_add_f64 v[152:153], v[152:153], v[156:157]
	v_fma_f64 v[58:59], v[84:85], s[12:13], -v[58:59]
	v_fma_f64 v[52:53], s[4:5], v[110:111], v[56:57]
	v_add_f64 v[54:55], v[54:55], v[154:155]
	v_mul_f64 v[154:155], v[82:83], s[34:35]
	v_fma_f64 v[164:165], v[70:71], s[16:17], -v[158:159]
	v_mul_f64 v[170:171], v[122:123], s[24:25]
	v_add_f64 v[58:59], v[58:59], v[152:153]
	v_fma_f64 v[56:57], v[110:111], s[4:5], -v[56:57]
	v_add_f64 v[52:53], v[52:53], v[54:55]
	v_fma_f64 v[54:55], v[72:73], s[26:27], -v[154:155]
	v_add_f64 v[164:165], v[20:21], v[164:165]
	v_add_f64 v[56:57], v[56:57], v[58:59]
	v_fma_f64 v[58:59], v[114:115], s[20:21], -v[170:171]
	v_fmac_f64_e32 v[158:159], s[16:17], v[70:71]
	v_add_f64 v[54:55], v[54:55], v[164:165]
	v_mul_f64 v[164:165], v[88:89], s[14:15]
	v_add_f64 v[58:59], v[58:59], v[56:57]
	v_fmac_f64_e32 v[154:155], s[26:27], v[72:73]
	v_add_f64 v[56:57], v[20:21], v[158:159]
	v_fma_f64 v[166:167], v[76:77], s[12:13], -v[164:165]
	v_fmac_f64_e32 v[164:165], s[12:13], v[76:77]
	v_add_f64 v[56:57], v[154:155], v[56:57]
	v_add_f64 v[54:55], v[166:167], v[54:55]
	v_mul_f64 v[166:167], v[112:113], s[36:37]
	v_add_f64 v[56:57], v[164:165], v[56:57]
	v_mul_f64 v[164:165], v[86:87], s[14:15]
	v_fma_f64 v[168:169], v[104:105], s[4:5], -v[166:167]
	v_mul_f64 v[158:159], v[90:91], s[30:31]
	v_fma_f64 v[154:155], s[12:13], v[74:75], v[164:165]
	v_add_f64 v[168:169], v[168:169], v[54:55]
	v_fma_f64 v[54:55], s[20:21], v[114:115], v[170:171]
	v_mul_f64 v[172:173], v[116:117], s[24:25]
	v_fmac_f64_e32 v[166:167], s[4:5], v[104:105]
	v_mul_f64 v[156:157], v[96:97], s[28:29]
	v_fma_f64 v[152:153], s[20:21], v[78:79], v[158:159]
	v_add_f64 v[154:155], v[22:23], v[154:155]
	v_add_f64 v[54:55], v[54:55], v[52:53]
	v_fma_f64 v[52:53], v[108:109], s[20:21], -v[172:173]
	v_add_f64 v[56:57], v[166:167], v[56:57]
	v_add_f64 v[152:153], v[152:153], v[154:155]
	v_fma_f64 v[154:155], s[26:27], v[84:85], v[156:157]
	v_mul_f64 v[166:167], v[118:119], s[18:19]
	v_add_f64 v[52:53], v[52:53], v[168:169]
	v_add_f64 v[152:153], v[154:155], v[152:153]
	v_fma_f64 v[154:155], s[16:17], v[110:111], v[166:167]
	v_mul_f64 v[168:169], v[80:81], s[14:15]
	v_fmac_f64_e32 v[172:173], s[20:21], v[108:109]
	v_add_f64 v[152:153], v[154:155], v[152:153]
	v_fma_f64 v[154:155], v[70:71], s[12:13], -v[168:169]
	v_mul_f64 v[170:171], v[82:83], s[30:31]
	v_fma_f64 v[164:165], v[74:75], s[12:13], -v[164:165]
	v_add_f64 v[56:57], v[172:173], v[56:57]
	v_add_f64 v[154:155], v[20:21], v[154:155]
	v_fma_f64 v[172:173], v[72:73], s[20:21], -v[170:171]
	v_fma_f64 v[158:159], v[78:79], s[20:21], -v[158:159]
	v_add_f64 v[164:165], v[22:23], v[164:165]
	v_add_f64 v[154:155], v[172:173], v[154:155]
	v_mul_f64 v[172:173], v[88:89], s[28:29]
	v_add_f64 v[158:159], v[158:159], v[164:165]
	v_fma_f64 v[156:157], v[84:85], s[26:27], -v[156:157]
	v_fma_f64 v[174:175], v[76:77], s[26:27], -v[172:173]
	v_add_f64 v[156:157], v[156:157], v[158:159]
	v_fma_f64 v[158:159], v[110:111], s[16:17], -v[166:167]
	v_fmac_f64_e32 v[168:169], s[12:13], v[70:71]
	v_add_f64 v[154:155], v[174:175], v[154:155]
	v_mul_f64 v[174:175], v[112:113], s[18:19]
	v_add_f64 v[156:157], v[158:159], v[156:157]
	v_fmac_f64_e32 v[170:171], s[20:21], v[72:73]
	v_add_f64 v[158:159], v[20:21], v[168:169]
	v_fma_f64 v[176:177], v[104:105], s[16:17], -v[174:175]
	v_mul_f64 v[178:179], v[122:123], s[36:37]
	v_add_f64 v[158:159], v[170:171], v[158:159]
	v_fmac_f64_e32 v[172:173], s[26:27], v[76:77]
	v_add_f64 v[176:177], v[176:177], v[154:155]
	v_fma_f64 v[154:155], s[4:5], v[114:115], v[178:179]
	v_mul_f64 v[180:181], v[116:117], s[36:37]
	v_add_f64 v[158:159], v[172:173], v[158:159]
	v_fmac_f64_e32 v[174:175], s[16:17], v[104:105]
	v_add_f64 v[154:155], v[154:155], v[152:153]
	v_fma_f64 v[152:153], v[108:109], s[4:5], -v[180:181]
	v_add_f64 v[164:165], v[174:175], v[158:159]
	v_fma_f64 v[158:159], v[114:115], s[4:5], -v[178:179]
	v_fmac_f64_e32 v[180:181], s[4:5], v[108:109]
	v_add_f64 v[158:159], v[158:159], v[156:157]
	v_add_f64 v[156:157], v[180:181], v[164:165]
	v_mul_f64 v[164:165], v[122:123], s[14:15]
	v_add_f64 v[142:143], v[142:143], -v[160:161]
	v_mul_f64 v[160:161], v[86:87], s[24:25]
	v_add_f64 v[148:149], v[148:149], -v[164:165]
	;; [unrolled: 2-line block ×3, first 2 shown]
	v_add_f64 v[146:147], v[146:147], -v[164:165]
	v_mul_f64 v[164:165], v[96:97], s[36:37]
	v_add_f64 v[138:139], v[22:23], v[138:139]
	v_add_f64 v[144:145], v[144:145], -v[164:165]
	v_add_f64 v[138:139], v[142:143], v[138:139]
	v_add_f64 v[138:139], v[144:145], v[138:139]
	;; [unrolled: 1-line block ×3, first 2 shown]
	v_mul_f64 v[146:147], v[108:109], s[12:13]
	v_add_f64 v[140:141], v[146:147], v[140:141]
	v_mul_f64 v[146:147], v[104:105], s[26:27]
	v_mul_f64 v[142:143], v[70:71], s[20:21]
	v_add_f64 v[136:137], v[146:147], v[136:137]
	v_mul_f64 v[146:147], v[76:77], s[4:5]
	v_mul_f64 v[164:165], v[70:71], s[4:5]
	;; [unrolled: 1-line block ×3, first 2 shown]
	v_add_f64 v[134:135], v[146:147], v[134:135]
	v_mul_f64 v[146:147], v[72:73], s[16:17]
	v_add_f64 v[130:131], v[142:143], v[130:131]
	v_mul_f64 v[144:145], v[72:73], s[12:13]
	;; [unrolled: 2-line block ×3, first 2 shown]
	v_add_f64 v[130:131], v[20:21], v[130:131]
	v_add_f64 v[100:101], v[100:101], -v[160:161]
	v_add_f64 v[92:93], v[164:165], v[92:93]
	v_mul_f64 v[142:143], v[76:77], s[16:17]
	v_add_f64 v[130:131], v[132:133], v[130:131]
	v_add_f64 v[102:103], v[102:103], -v[146:147]
	v_add_f64 v[100:101], v[22:23], v[100:101]
	v_add_f64 v[94:95], v[144:145], v[94:95]
	;; [unrolled: 1-line block ×3, first 2 shown]
	v_mul_f64 v[166:167], v[104:105], s[20:21]
	v_add_f64 v[130:131], v[134:135], v[130:131]
	v_add_f64 v[106:107], v[106:107], -v[162:163]
	v_add_f64 v[100:101], v[102:103], v[100:101]
	v_add_f64 v[98:99], v[142:143], v[98:99]
	;; [unrolled: 1-line block ×4, first 2 shown]
	v_mul_f64 v[136:137], v[108:109], s[26:27]
	v_add_f64 v[100:101], v[106:107], v[100:101]
	v_add_f64 v[106:107], v[166:167], v[120:121]
	;; [unrolled: 1-line block ×5, first 2 shown]
	v_mul_f64 v[86:87], v[86:87], s[28:29]
	v_add_f64 v[132:133], v[148:149], v[138:139]
	v_mul_f64 v[138:139], v[122:123], s[34:35]
	v_add_f64 v[98:99], v[102:103], v[92:93]
	v_mul_f64 v[92:93], v[122:123], s[18:19]
	v_fma_f64 v[122:123], s[26:27], v[74:75], v[86:87]
	v_fma_f64 v[74:75], v[74:75], s[26:27], -v[86:87]
	v_add_f64 v[122:123], v[22:23], v[122:123]
	v_add_f64 v[74:75], v[22:23], v[74:75]
	;; [unrolled: 1-line block ×15, first 2 shown]
	v_mul_f64 v[120:121], v[90:91], s[10:11]
	v_add_f64 v[10:11], v[10:11], v[40:41]
	v_mul_f64 v[96:97], v[96:97], s[24:25]
	v_fma_f64 v[90:91], s[4:5], v[78:79], v[120:121]
	v_mul_f64 v[80:81], v[80:81], s[28:29]
	v_add_f64 v[10:11], v[10:11], v[44:45]
	v_mul_f64 v[134:135], v[118:119], s[30:31]
	v_mul_f64 v[102:103], v[118:119], s[14:15]
	v_fma_f64 v[118:119], s[20:21], v[84:85], v[96:97]
	v_add_f64 v[90:91], v[90:91], v[122:123]
	v_mul_f64 v[82:83], v[82:83], s[10:11]
	v_fma_f64 v[124:125], v[70:71], s[26:27], -v[80:81]
	v_fmac_f64_e32 v[80:81], s[26:27], v[70:71]
	v_add_f64 v[10:11], v[10:11], v[48:49]
	v_fma_f64 v[106:107], s[12:13], v[110:111], v[102:103]
	v_add_f64 v[90:91], v[118:119], v[90:91]
	v_mul_f64 v[118:119], v[88:89], s[24:25]
	v_fma_f64 v[122:123], v[72:73], s[4:5], -v[82:83]
	v_add_f64 v[124:125], v[20:21], v[124:125]
	v_fma_f64 v[78:79], v[78:79], s[4:5], -v[120:121]
	v_fmac_f64_e32 v[82:83], s[4:5], v[72:73]
	v_add_f64 v[70:71], v[20:21], v[80:81]
	v_add_f64 v[10:11], v[10:11], v[36:37]
	v_fma_f64 v[94:95], s[16:17], v[114:115], v[92:93]
	v_add_f64 v[90:91], v[106:107], v[90:91]
	v_mul_f64 v[112:113], v[112:113], s[14:15]
	v_fma_f64 v[88:89], v[76:77], s[20:21], -v[118:119]
	v_add_f64 v[122:123], v[122:123], v[124:125]
	v_fma_f64 v[84:85], v[84:85], s[20:21], -v[96:97]
	v_add_f64 v[74:75], v[78:79], v[74:75]
	v_fmac_f64_e32 v[118:119], s[20:21], v[76:77]
	v_add_f64 v[70:71], v[82:83], v[70:71]
	v_add_f64 v[10:11], v[10:11], v[16:17]
	v_add_f64 v[126:127], v[126:127], -v[134:135]
	v_add_f64 v[90:91], v[94:95], v[90:91]
	v_mul_f64 v[94:95], v[116:117], s[18:19]
	v_fma_f64 v[116:117], v[104:105], s[12:13], -v[112:113]
	v_add_f64 v[88:89], v[88:89], v[122:123]
	v_fma_f64 v[102:103], v[110:111], s[12:13], -v[102:103]
	v_add_f64 v[74:75], v[84:85], v[74:75]
	v_fmac_f64_e32 v[112:113], s[12:13], v[104:105]
	v_add_f64 v[70:71], v[118:119], v[70:71]
	v_add_f64 v[8:9], v[10:11], v[8:9]
	s_movk_i32 s4, 0xa0
	v_add_f64 v[128:129], v[128:129], -v[138:139]
	v_add_f64 v[100:101], v[126:127], v[100:101]
	v_fma_f64 v[106:107], v[108:109], s[16:17], -v[94:95]
	v_add_f64 v[88:89], v[116:117], v[88:89]
	v_fma_f64 v[92:93], v[114:115], s[16:17], -v[92:93]
	v_add_f64 v[74:75], v[102:103], v[74:75]
	v_fmac_f64_e32 v[94:95], s[16:17], v[108:109]
	v_add_f64 v[70:71], v[112:113], v[70:71]
	v_add_f64 v[4:5], v[8:9], v[4:5]
	v_mad_u32_u24 v8, v64, s4, v150
	v_add_f64 v[152:153], v[152:153], v[176:177]
	v_add_f64 v[130:131], v[140:141], v[130:131]
	;; [unrolled: 1-line block ×6, first 2 shown]
	ds_write_b128 v8, v[4:7]
	ds_write_b128 v8, v[72:75] offset:16
	ds_write_b128 v8, v[98:101] offset:32
	;; [unrolled: 1-line block ×10, first 2 shown]
.LBB0_21:
	s_or_b64 exec, exec, s[22:23]
	s_movk_i32 s4, 0x75
	v_mul_lo_u16_sdwa v16, v64, s4 dst_sel:DWORD dst_unused:UNUSED_PAD src0_sel:BYTE_0 src1_sel:DWORD
	s_mov_b32 s4, 0xba2f
	v_mul_u32_u24_sdwa v42, v66, s4 dst_sel:DWORD dst_unused:UNUSED_PAD src0_sel:WORD_0 src1_sel:DWORD
	v_lshrrev_b32_e32 v69, 19, v42
	v_mul_lo_u16_e32 v4, 11, v69
	v_sub_u16_e32 v4, v66, v4
	v_sub_u16_sdwa v17, v64, v16 dst_sel:DWORD dst_unused:UNUSED_PAD src0_sel:DWORD src1_sel:BYTE_1
	v_lshlrev_b32_e32 v70, 4, v4
	v_mul_u32_u24_sdwa v4, v68, s4 dst_sel:DWORD dst_unused:UNUSED_PAD src0_sel:WORD_0 src1_sel:DWORD
	v_lshrrev_b16_e32 v17, 1, v17
	v_lshrrev_b32_e32 v71, 19, v4
	v_and_b32_e32 v17, 0x7f, v17
	v_mul_lo_u16_e32 v4, 11, v71
	v_add_u16_sdwa v16, v17, v16 dst_sel:DWORD dst_unused:UNUSED_PAD src0_sel:DWORD src1_sel:BYTE_1
	v_add_u32_e32 v40, 0xa5, v64
	v_sub_u16_e32 v8, v68, v4
	v_lshrrev_b16_e32 v68, 3, v16
	v_mul_lo_u16_e32 v16, 11, v68
	v_mul_u32_u24_sdwa v43, v40, s4 dst_sel:DWORD dst_unused:UNUSED_PAD src0_sel:WORD_0 src1_sel:DWORD
	v_lshlrev_b32_e32 v72, 4, v8
	v_sub_u16_e32 v16, v64, v16
	v_mov_b32_e32 v41, 4
	v_lshrrev_b32_e32 v74, 19, v43
	s_waitcnt lgkmcnt(0)
	s_barrier
	global_load_dwordx4 v[4:7], v70, s[8:9]
	global_load_dwordx4 v[8:11], v72, s[8:9]
	v_lshlrev_b32_sdwa v73, v41, v16 dst_sel:DWORD dst_unused:UNUSED_PAD src0_sel:DWORD src1_sel:BYTE_0
	v_mul_lo_u16_e32 v16, 11, v74
	v_sub_u16_e32 v20, v40, v16
	v_lshlrev_b32_e32 v75, 4, v20
	global_load_dwordx4 v[16:19], v73, s[8:9]
	global_load_dwordx4 v[20:23], v75, s[8:9]
	ds_read_b128 v[24:27], v150
	ds_read_b128 v[32:35], v150 offset:2640
	ds_read_b128 v[36:39], v150 offset:10560
	;; [unrolled: 1-line block ×3, first 2 shown]
	ds_read_b128 v[48:51], v65
	ds_read_b128 v[52:55], v67
	ds_read_b128 v[28:31], v150 offset:15840
	ds_read_b128 v[56:59], v150 offset:18480
	s_mov_b32 s5, 0x5040100
	s_movk_i32 s4, 0x160
	v_perm_b32 v69, v71, v69, s5
	v_pk_mul_lo_u16 v69, v69, s4 op_sel_hi:[1,0]
	v_mul_u32_u24_e32 v67, 0x160, v74
	v_and_b32_e32 v71, 0xffe0, v69
	v_add3_u32 v67, 0, v67, v75
	v_add3_u32 v75, 0, v71, v70
	v_mul_u32_u24_e32 v68, 0x160, v68
	v_lshrrev_b32_e32 v74, 16, v69
	v_add3_u32 v73, 0, v68, v73
	s_waitcnt lgkmcnt(0)
	s_barrier
	s_movk_i32 s4, 0x6e
	v_cmp_gt_u32_e32 vcc, s4, v64
	s_waitcnt vmcnt(3)
	v_mul_f64 v[68:69], v[30:31], v[6:7]
	s_waitcnt vmcnt(2)
	v_mul_f64 v[70:71], v[58:59], v[10:11]
	v_mul_f64 v[10:11], v[56:57], v[10:11]
	;; [unrolled: 1-line block ×3, first 2 shown]
	v_fmac_f64_e32 v[70:71], v[56:57], v[8:9]
	v_fma_f64 v[8:9], v[58:59], v[8:9], -v[10:11]
	v_fmac_f64_e32 v[68:69], v[28:29], v[4:5]
	v_fma_f64 v[6:7], v[30:31], v[4:5], -v[6:7]
	v_add_f64 v[28:29], v[52:53], -v[70:71]
	v_add_f64 v[30:31], v[54:55], -v[8:9]
	v_fma_f64 v[8:9], v[52:53], 2.0, -v[28:29]
	v_fma_f64 v[10:11], v[54:55], 2.0, -v[30:31]
	s_waitcnt vmcnt(1)
	v_mul_f64 v[52:53], v[38:39], v[18:19]
	v_mul_f64 v[18:19], v[36:37], v[18:19]
	s_waitcnt vmcnt(0)
	v_mul_f64 v[54:55], v[46:47], v[22:23]
	v_mul_f64 v[22:23], v[44:45], v[22:23]
	v_fmac_f64_e32 v[52:53], v[36:37], v[16:17]
	v_fma_f64 v[18:19], v[38:39], v[16:17], -v[18:19]
	v_fmac_f64_e32 v[54:55], v[44:45], v[20:21]
	v_fma_f64 v[22:23], v[46:47], v[20:21], -v[22:23]
	v_add_f64 v[4:5], v[48:49], -v[68:69]
	v_add_f64 v[6:7], v[50:51], -v[6:7]
	;; [unrolled: 1-line block ×6, first 2 shown]
	v_fma_f64 v[48:49], v[48:49], 2.0, -v[4:5]
	v_fma_f64 v[50:51], v[50:51], 2.0, -v[6:7]
	;; [unrolled: 1-line block ×6, first 2 shown]
	ds_write_b128 v73, v[16:19] offset:176
	ds_write_b128 v73, v[24:27]
	ds_write_b128 v67, v[32:35]
	ds_write_b128 v67, v[20:23] offset:176
	ds_write_b128 v75, v[48:51]
	ds_write_b128 v75, v[4:7] offset:176
	v_add3_u32 v4, 0, v74, v72
	ds_write_b128 v4, v[8:11]
	ds_write_b128 v4, v[28:31] offset:176
	s_waitcnt lgkmcnt(0)
	s_barrier
	ds_read_b128 v[20:23], v150
	ds_read_b128 v[4:7], v150 offset:2640
	ds_read_b128 v[16:19], v150 offset:7040
	;; [unrolled: 1-line block ×5, first 2 shown]
	s_and_saveexec_b64 s[4:5], vcc
	s_cbranch_execz .LBB0_23
; %bb.22:
	ds_read_b128 v[8:11], v65
	ds_read_b128 v[28:31], v150 offset:12320
	ds_read_b128 v[12:15], v150 offset:19360
.LBB0_23:
	s_or_b64 exec, exec, s[4:5]
	v_lshrrev_b32_e32 v82, 20, v43
	v_mul_lo_u16_e32 v43, 22, v82
	v_sub_u16_e32 v83, v40, v43
	v_lshlrev_b32_e32 v43, 5, v83
	v_lshrrev_b32_e32 v42, 20, v42
	global_load_dwordx4 v[44:47], v43, s[8:9] offset:192
	global_load_dwordx4 v[48:51], v43, s[8:9] offset:176
	v_mul_lo_u16_e32 v43, 22, v42
	v_sub_u16_e32 v43, v66, v43
	v_lshlrev_b32_e32 v66, 5, v43
	global_load_dwordx4 v[52:55], v66, s[8:9] offset:176
	global_load_dwordx4 v[56:59], v66, s[8:9] offset:192
	v_lshrrev_b16_e32 v66, 1, v64
	v_and_b32_e32 v66, 0x7f, v66
	v_mul_lo_u16_e32 v66, 0xbb, v66
	v_lshrrev_b16_e32 v84, 11, v66
	v_mul_lo_u16_e32 v66, 22, v84
	v_mov_b32_e32 v67, 5
	v_sub_u16_e32 v85, v64, v66
	v_lshlrev_b32_sdwa v74, v67, v85 dst_sel:DWORD dst_unused:UNUSED_PAD src0_sel:DWORD src1_sel:BYTE_0
	global_load_dwordx4 v[66:69], v74, s[8:9] offset:176
	global_load_dwordx4 v[70:73], v74, s[8:9] offset:192
	s_mov_b32 s4, 0xe8584caa
	s_mov_b32 s5, 0xbfebb67a
	;; [unrolled: 1-line block ×4, first 2 shown]
	v_lshlrev_b32_sdwa v41, v41, v85 dst_sel:DWORD dst_unused:UNUSED_PAD src0_sel:DWORD src1_sel:BYTE_0
	s_waitcnt lgkmcnt(0)
	s_barrier
	s_waitcnt vmcnt(5)
	v_mul_f64 v[76:77], v[38:39], v[46:47]
	s_waitcnt vmcnt(4)
	v_mul_f64 v[74:75], v[34:35], v[50:51]
	v_mul_f64 v[50:51], v[32:33], v[50:51]
	;; [unrolled: 1-line block ×3, first 2 shown]
	s_waitcnt vmcnt(3)
	v_mul_f64 v[78:79], v[30:31], v[54:55]
	v_mul_f64 v[54:55], v[28:29], v[54:55]
	s_waitcnt vmcnt(2)
	v_mul_f64 v[80:81], v[14:15], v[58:59]
	v_mul_f64 v[58:59], v[12:13], v[58:59]
	v_fmac_f64_e32 v[74:75], v[32:33], v[48:49]
	v_fmac_f64_e32 v[76:77], v[36:37], v[44:45]
	v_fma_f64 v[32:33], v[34:35], v[48:49], -v[50:51]
	v_fma_f64 v[34:35], v[38:39], v[44:45], -v[46:47]
	v_fmac_f64_e32 v[78:79], v[28:29], v[52:53]
	v_fma_f64 v[28:29], v[30:31], v[52:53], -v[54:55]
	v_fmac_f64_e32 v[80:81], v[12:13], v[56:57]
	v_fma_f64 v[14:15], v[14:15], v[56:57], -v[58:59]
	v_add_f64 v[12:13], v[4:5], v[74:75]
	v_add_f64 v[30:31], v[74:75], v[76:77]
	v_add_f64 v[44:45], v[74:75], -v[76:77]
	s_waitcnt vmcnt(1)
	v_mul_f64 v[58:59], v[18:19], v[68:69]
	s_waitcnt vmcnt(0)
	v_mul_f64 v[74:75], v[26:27], v[72:73]
	v_add_f64 v[36:37], v[32:33], -v[34:35]
	v_add_f64 v[38:39], v[6:7], v[32:33]
	v_add_f64 v[32:33], v[32:33], v[34:35]
	v_mul_f64 v[68:69], v[16:17], v[68:69]
	v_mul_f64 v[72:73], v[24:25], v[72:73]
	v_fmac_f64_e32 v[58:59], v[16:17], v[66:67]
	v_fmac_f64_e32 v[74:75], v[24:25], v[70:71]
	v_fmac_f64_e32 v[4:5], -0.5, v[30:31]
	v_add_f64 v[30:31], v[38:39], v[34:35]
	v_fmac_f64_e32 v[6:7], -0.5, v[32:33]
	v_fma_f64 v[32:33], v[18:19], v[66:67], -v[68:69]
	v_fma_f64 v[34:35], v[26:27], v[70:71], -v[72:73]
	v_add_f64 v[38:39], v[58:59], v[74:75]
	v_add_f64 v[46:47], v[8:9], v[78:79]
	;; [unrolled: 1-line block ×3, first 2 shown]
	v_fma_f64 v[24:25], s[4:5], v[36:37], v[4:5]
	v_fmac_f64_e32 v[4:5], s[10:11], v[36:37]
	v_fma_f64 v[26:27], s[10:11], v[44:45], v[6:7]
	v_fmac_f64_e32 v[6:7], s[4:5], v[44:45]
	v_add_f64 v[36:37], v[20:21], v[58:59]
	v_add_f64 v[44:45], v[32:33], -v[34:35]
	v_fmac_f64_e32 v[20:21], -0.5, v[38:39]
	v_add_f64 v[50:51], v[28:29], -v[14:15]
	v_add_f64 v[52:53], v[10:11], v[28:29]
	v_add_f64 v[54:55], v[28:29], v[14:15]
	;; [unrolled: 1-line block ×4, first 2 shown]
	v_fmac_f64_e32 v[8:9], -0.5, v[48:49]
	v_add_f64 v[46:47], v[22:23], v[32:33]
	v_add_f64 v[48:49], v[32:33], v[34:35]
	;; [unrolled: 1-line block ×3, first 2 shown]
	v_fma_f64 v[36:37], s[4:5], v[44:45], v[20:21]
	v_fmac_f64_e32 v[20:21], s[10:11], v[44:45]
	v_mul_u32_u24_e32 v44, 0x420, v84
	v_fma_f64 v[16:17], s[4:5], v[50:51], v[8:9]
	v_fmac_f64_e32 v[8:9], s[10:11], v[50:51]
	v_add_f64 v[50:51], v[58:59], -v[74:75]
	v_add_f64 v[34:35], v[46:47], v[34:35]
	v_fmac_f64_e32 v[22:23], -0.5, v[48:49]
	v_add3_u32 v41, 0, v44, v41
	v_add_f64 v[56:57], v[78:79], -v[80:81]
	v_fmac_f64_e32 v[10:11], -0.5, v[54:55]
	v_fma_f64 v[38:39], s[10:11], v[50:51], v[22:23]
	v_fmac_f64_e32 v[22:23], s[4:5], v[50:51]
	ds_write_b128 v41, v[32:35]
	ds_write_b128 v41, v[36:39] offset:352
	ds_write_b128 v41, v[20:23] offset:704
	v_mul_u32_u24_e32 v20, 0x420, v82
	v_lshlrev_b32_e32 v21, 4, v83
	v_add_f64 v[14:15], v[52:53], v[14:15]
	v_fma_f64 v[18:19], s[10:11], v[56:57], v[10:11]
	v_fmac_f64_e32 v[10:11], s[4:5], v[56:57]
	v_add3_u32 v20, 0, v20, v21
	ds_write_b128 v20, v[28:31]
	ds_write_b128 v20, v[24:27] offset:352
	ds_write_b128 v20, v[4:7] offset:704
	s_and_saveexec_b64 s[4:5], vcc
	s_cbranch_execz .LBB0_25
; %bb.24:
	v_mul_lo_u16_e32 v20, 0x42, v42
	v_lshlrev_b32_e32 v21, 4, v43
	v_lshlrev_b32_e32 v20, 4, v20
	v_add3_u32 v20, 0, v21, v20
	ds_write_b128 v20, v[12:15]
	ds_write_b128 v20, v[16:19] offset:352
	ds_write_b128 v20, v[8:11] offset:704
.LBB0_25:
	s_or_b64 exec, exec, s[4:5]
	s_waitcnt lgkmcnt(0)
	s_barrier
	ds_read_b128 v[20:23], v150
	ds_read_b128 v[36:39], v150 offset:4224
	ds_read_b128 v[32:35], v150 offset:8448
	;; [unrolled: 1-line block ×4, first 2 shown]
	s_movk_i32 s4, 0x63
	v_cmp_gt_u32_e32 vcc, s4, v64
	s_and_saveexec_b64 s[4:5], vcc
	s_cbranch_execz .LBB0_27
; %bb.26:
	ds_read_b128 v[4:7], v150 offset:2640
	ds_read_b128 v[12:15], v150 offset:6864
	ds_read_b128 v[16:19], v150 offset:11088
	ds_read_b128 v[8:11], v150 offset:15312
	ds_read_b128 v[0:3], v150 offset:19536
.LBB0_27:
	s_or_b64 exec, exec, s[4:5]
	s_movk_i32 s4, 0xf9
	v_mul_lo_u16_sdwa v41, v64, s4 dst_sel:DWORD dst_unused:UNUSED_PAD src0_sel:BYTE_0 src1_sel:DWORD
	v_lshrrev_b16_e32 v41, 14, v41
	v_mul_lo_u16_e32 v42, 0x42, v41
	v_sub_u16_e32 v82, v64, v42
	v_mov_b32_e32 v42, 6
	v_lshlrev_b32_sdwa v58, v42, v82 dst_sel:DWORD dst_unused:UNUSED_PAD src0_sel:DWORD src1_sel:BYTE_0
	global_load_dwordx4 v[42:45], v58, s[8:9] offset:880
	global_load_dwordx4 v[46:49], v58, s[8:9] offset:896
	;; [unrolled: 1-line block ×4, first 2 shown]
	s_mov_b32 s12, 0x134454ff
	s_mov_b32 s13, 0xbfee6f0e
	;; [unrolled: 1-line block ×9, first 2 shown]
	v_mul_u32_u24_e32 v41, 0x14a0, v41
	s_mov_b32 s11, 0x3fd3c6ef
	s_waitcnt lgkmcnt(0)
	s_barrier
	s_waitcnt vmcnt(3)
	v_mul_f64 v[58:59], v[38:39], v[44:45]
	s_waitcnt vmcnt(2)
	v_mul_f64 v[66:67], v[34:35], v[48:49]
	;; [unrolled: 2-line block ×4, first 2 shown]
	v_mul_f64 v[44:45], v[36:37], v[44:45]
	v_mul_f64 v[48:49], v[32:33], v[48:49]
	;; [unrolled: 1-line block ×4, first 2 shown]
	v_fmac_f64_e32 v[58:59], v[36:37], v[42:43]
	v_fmac_f64_e32 v[66:67], v[32:33], v[46:47]
	v_fmac_f64_e32 v[68:69], v[28:29], v[50:51]
	v_fmac_f64_e32 v[70:71], v[24:25], v[54:55]
	v_fma_f64 v[36:37], v[38:39], v[42:43], -v[44:45]
	v_fma_f64 v[32:33], v[34:35], v[46:47], -v[48:49]
	;; [unrolled: 1-line block ×4, first 2 shown]
	v_add_f64 v[24:25], v[20:21], v[58:59]
	v_add_f64 v[26:27], v[66:67], v[68:69]
	;; [unrolled: 1-line block ×3, first 2 shown]
	v_add_f64 v[44:45], v[32:33], -v[30:31]
	v_add_f64 v[28:29], v[58:59], -v[66:67]
	;; [unrolled: 1-line block ×4, first 2 shown]
	v_add_f64 v[52:53], v[22:23], v[36:37]
	v_add_f64 v[56:57], v[58:59], -v[70:71]
	v_add_f64 v[58:59], v[66:67], -v[68:69]
	v_add_f64 v[66:67], v[24:25], v[66:67]
	v_fma_f64 v[24:25], -0.5, v[26:27], v[20:21]
	v_fmac_f64_e32 v[20:21], -0.5, v[46:47]
	v_add_f64 v[42:43], v[36:37], -v[38:39]
	v_add_f64 v[54:55], v[32:33], v[30:31]
	v_add_f64 v[72:73], v[36:37], -v[32:33]
	v_add_f64 v[76:77], v[36:37], v[38:39]
	;; [unrolled: 2-line block ×3, first 2 shown]
	v_add_f64 v[34:35], v[52:53], v[32:33]
	v_fma_f64 v[32:33], s[16:17], v[44:45], v[20:21]
	v_fmac_f64_e32 v[20:21], s[12:13], v[44:45]
	v_add_f64 v[50:51], v[68:69], -v[70:71]
	v_add_f64 v[78:79], v[30:31], -v[38:39]
	v_fma_f64 v[26:27], -0.5, v[54:55], v[22:23]
	v_fmac_f64_e32 v[22:23], -0.5, v[76:77]
	v_fma_f64 v[28:29], s[12:13], v[42:43], v[24:25]
	v_fmac_f64_e32 v[24:25], s[16:17], v[42:43]
	v_fmac_f64_e32 v[32:33], s[4:5], v[42:43]
	;; [unrolled: 1-line block ×3, first 2 shown]
	v_mov_b32_e32 v42, 4
	v_add_f64 v[74:75], v[38:39], -v[30:31]
	v_add_f64 v[46:47], v[48:49], v[50:51]
	v_add_f64 v[50:51], v[36:37], v[78:79]
	;; [unrolled: 1-line block ×4, first 2 shown]
	v_fma_f64 v[30:31], s[16:17], v[56:57], v[26:27]
	v_fmac_f64_e32 v[26:27], s[12:13], v[56:57]
	v_fma_f64 v[34:35], s[12:13], v[58:59], v[22:23]
	v_fmac_f64_e32 v[22:23], s[16:17], v[58:59]
	v_lshlrev_b32_sdwa v42, v42, v82 dst_sel:DWORD dst_unused:UNUSED_PAD src0_sel:DWORD src1_sel:BYTE_0
	v_add_f64 v[48:49], v[72:73], v[74:75]
	v_add_f64 v[36:37], v[36:37], v[70:71]
	v_fmac_f64_e32 v[28:29], s[4:5], v[44:45]
	v_fmac_f64_e32 v[24:25], s[14:15], v[44:45]
	v_add_f64 v[38:39], v[52:53], v[38:39]
	v_fmac_f64_e32 v[30:31], s[14:15], v[58:59]
	v_fmac_f64_e32 v[26:27], s[4:5], v[58:59]
	v_fmac_f64_e32 v[34:35], s[14:15], v[56:57]
	v_fmac_f64_e32 v[22:23], s[4:5], v[56:57]
	v_add3_u32 v41, 0, v41, v42
	v_fmac_f64_e32 v[28:29], s[10:11], v[80:81]
	v_fmac_f64_e32 v[24:25], s[10:11], v[80:81]
	v_fmac_f64_e32 v[32:33], s[10:11], v[46:47]
	v_fmac_f64_e32 v[20:21], s[10:11], v[46:47]
	v_fmac_f64_e32 v[30:31], s[10:11], v[48:49]
	v_fmac_f64_e32 v[26:27], s[10:11], v[48:49]
	v_fmac_f64_e32 v[34:35], s[10:11], v[50:51]
	v_fmac_f64_e32 v[22:23], s[10:11], v[50:51]
	ds_write_b128 v41, v[36:39]
	ds_write_b128 v41, v[28:31] offset:1056
	ds_write_b128 v41, v[32:35] offset:2112
	;; [unrolled: 1-line block ×4, first 2 shown]
	s_and_saveexec_b64 s[18:19], vcc
	s_cbranch_execz .LBB0_29
; %bb.28:
	s_mov_b32 s20, 0xf83f
	v_mul_u32_u24_sdwa v20, v40, s20 dst_sel:DWORD dst_unused:UNUSED_PAD src0_sel:WORD_0 src1_sel:DWORD
	v_lshrrev_b32_e32 v36, 22, v20
	v_mul_lo_u16_e32 v20, 0x42, v36
	v_sub_u16_e32 v37, v40, v20
	v_lshlrev_b32_e32 v38, 6, v37
	global_load_dwordx4 v[20:23], v38, s[8:9] offset:896
	global_load_dwordx4 v[24:27], v38, s[8:9] offset:880
	;; [unrolled: 1-line block ×4, first 2 shown]
	v_mul_lo_u16_e32 v36, 0x14a, v36
	v_lshlrev_b32_e32 v36, 4, v36
	v_lshlrev_b32_e32 v37, 4, v37
	v_add3_u32 v56, 0, v37, v36
	s_waitcnt vmcnt(3)
	v_mul_f64 v[36:37], v[16:17], v[22:23]
	s_waitcnt vmcnt(2)
	v_mul_f64 v[38:39], v[12:13], v[26:27]
	;; [unrolled: 2-line block ×4, first 2 shown]
	v_mul_f64 v[22:23], v[18:19], v[22:23]
	v_mul_f64 v[30:31], v[10:11], v[30:31]
	;; [unrolled: 1-line block ×4, first 2 shown]
	v_fma_f64 v[18:19], v[18:19], v[20:21], -v[36:37]
	v_fma_f64 v[14:15], v[14:15], v[24:25], -v[38:39]
	;; [unrolled: 1-line block ×4, first 2 shown]
	v_fmac_f64_e32 v[22:23], v[16:17], v[20:21]
	v_fmac_f64_e32 v[30:31], v[8:9], v[28:29]
	;; [unrolled: 1-line block ×4, first 2 shown]
	v_add_f64 v[0:1], v[18:19], -v[14:15]
	v_add_f64 v[2:3], v[36:37], -v[38:39]
	v_add_f64 v[8:9], v[14:15], v[38:39]
	v_add_f64 v[20:21], v[26:27], -v[34:35]
	v_add_f64 v[10:11], v[14:15], -v[18:19]
	v_add_f64 v[24:25], v[18:19], v[36:37]
	v_add_f64 v[28:29], v[6:7], v[14:15]
	v_add_f64 v[32:33], v[22:23], -v[26:27]
	v_add_f64 v[42:43], v[14:15], -v[38:39]
	v_add_f64 v[14:15], v[26:27], v[34:35]
	v_add_f64 v[46:47], v[26:27], -v[22:23]
	v_add_f64 v[50:51], v[22:23], v[30:31]
	v_add_f64 v[26:27], v[4:5], v[26:27]
	v_add_f64 v[16:17], v[22:23], -v[30:31]
	v_add_f64 v[12:13], v[38:39], -v[36:37]
	;; [unrolled: 1-line block ×3, first 2 shown]
	v_add_f64 v[52:53], v[0:1], v[2:3]
	v_fma_f64 v[2:3], -0.5, v[8:9], v[6:7]
	v_fma_f64 v[6:7], -0.5, v[24:25], v[6:7]
	v_add_f64 v[8:9], v[28:29], v[18:19]
	v_fma_f64 v[0:1], -0.5, v[14:15], v[4:5]
	v_fma_f64 v[4:5], -0.5, v[50:51], v[4:5]
	v_add_f64 v[18:19], v[26:27], v[22:23]
	v_add_f64 v[40:41], v[30:31], -v[34:35]
	v_add_f64 v[48:49], v[34:35], -v[30:31]
	v_add_f64 v[54:55], v[10:11], v[12:13]
	v_fma_f64 v[10:11], s[16:17], v[16:17], v[2:3]
	v_fmac_f64_e32 v[2:3], s[12:13], v[16:17]
	v_fma_f64 v[14:15], s[12:13], v[20:21], v[6:7]
	v_fmac_f64_e32 v[6:7], s[16:17], v[20:21]
	v_add_f64 v[22:23], v[8:9], v[36:37]
	v_fma_f64 v[8:9], s[12:13], v[44:45], v[0:1]
	v_fmac_f64_e32 v[0:1], s[16:17], v[44:45]
	v_fma_f64 v[12:13], s[16:17], v[42:43], v[4:5]
	v_fmac_f64_e32 v[4:5], s[12:13], v[42:43]
	v_add_f64 v[26:27], v[18:19], v[30:31]
	v_add_f64 v[24:25], v[32:33], v[40:41]
	;; [unrolled: 1-line block ×3, first 2 shown]
	v_fmac_f64_e32 v[10:11], s[4:5], v[20:21]
	v_fmac_f64_e32 v[2:3], s[14:15], v[20:21]
	;; [unrolled: 1-line block ×4, first 2 shown]
	v_add_f64 v[18:19], v[22:23], v[38:39]
	v_fmac_f64_e32 v[8:9], s[14:15], v[42:43]
	v_fmac_f64_e32 v[0:1], s[4:5], v[42:43]
	;; [unrolled: 1-line block ×4, first 2 shown]
	v_add_f64 v[16:17], v[26:27], v[34:35]
	v_fmac_f64_e32 v[10:11], s[10:11], v[52:53]
	v_fmac_f64_e32 v[2:3], s[10:11], v[52:53]
	;; [unrolled: 1-line block ×8, first 2 shown]
	ds_write_b128 v56, v[16:19]
	ds_write_b128 v56, v[4:7] offset:1056
	ds_write_b128 v56, v[0:3] offset:2112
	;; [unrolled: 1-line block ×4, first 2 shown]
.LBB0_29:
	s_or_b64 exec, exec, s[18:19]
	v_mul_u32_u24_e32 v0, 3, v64
	v_lshlrev_b32_e32 v0, 4, v0
	v_mov_b32_e32 v1, 0
	v_lshl_add_u64 v[18:19], s[8:9], 0, v[0:1]
	s_mov_b64 s[4:5], 0x13f0
	v_lshl_add_u64 v[14:15], v[18:19], 0, s[4:5]
	s_movk_i32 s4, 0x1000
	v_add_co_u32_e32 v16, vcc, s4, v18
	s_movk_i32 s8, 0x3000
	s_nop 0
	v_addc_co_u32_e32 v17, vcc, 0, v19, vcc
	s_waitcnt lgkmcnt(0)
	s_barrier
	global_load_dwordx4 v[2:5], v[16:17], off offset:1008
	global_load_dwordx4 v[6:9], v[14:15], off offset:32
	;; [unrolled: 1-line block ×3, first 2 shown]
	s_mov_b64 s[4:5], 0x32e0
	v_add_co_u32_e32 v14, vcc, s8, v18
	v_lshl_add_u64 v[26:27], v[18:19], 0, s[4:5]
	s_nop 0
	v_addc_co_u32_e32 v15, vcc, 0, v19, vcc
	global_load_dwordx4 v[14:17], v[14:15], off offset:736
	s_nop 0
	global_load_dwordx4 v[18:21], v[26:27], off offset:16
	global_load_dwordx4 v[22:25], v[26:27], off offset:32
	ds_read_b128 v[26:29], v65
	ds_read_b128 v[30:33], v150
	ds_read_b128 v[34:37], v150 offset:2640
	ds_read_b128 v[38:41], v150 offset:10560
	;; [unrolled: 1-line block ×6, first 2 shown]
	s_waitcnt lgkmcnt(0)
	s_barrier
	s_waitcnt vmcnt(5)
	v_mul_f64 v[58:59], v[28:29], v[4:5]
	v_mul_f64 v[4:5], v[26:27], v[4:5]
	s_waitcnt vmcnt(3)
	v_mul_f64 v[66:67], v[40:41], v[12:13]
	v_mul_f64 v[12:13], v[38:39], v[12:13]
	;; [unrolled: 1-line block ×4, first 2 shown]
	v_fmac_f64_e32 v[58:59], v[26:27], v[2:3]
	v_fma_f64 v[2:3], v[28:29], v[2:3], -v[4:5]
	v_fmac_f64_e32 v[66:67], v[38:39], v[10:11]
	s_waitcnt vmcnt(2)
	v_mul_f64 v[70:71], v[44:45], v[16:17]
	v_mul_f64 v[16:17], v[42:43], v[16:17]
	s_waitcnt vmcnt(1)
	v_mul_f64 v[72:73], v[52:53], v[20:21]
	v_mul_f64 v[20:21], v[50:51], v[20:21]
	;; [unrolled: 3-line block ×3, first 2 shown]
	v_fma_f64 v[4:5], v[40:41], v[10:11], -v[12:13]
	v_fmac_f64_e32 v[68:69], v[46:47], v[6:7]
	v_fma_f64 v[6:7], v[48:49], v[6:7], -v[8:9]
	v_fmac_f64_e32 v[70:71], v[42:43], v[14:15]
	;; [unrolled: 2-line block ×4, first 2 shown]
	v_fma_f64 v[12:13], v[56:57], v[22:23], -v[24:25]
	v_add_f64 v[14:15], v[30:31], -v[66:67]
	v_add_f64 v[16:17], v[32:33], -v[4:5]
	;; [unrolled: 1-line block ×8, first 2 shown]
	v_fma_f64 v[22:23], v[30:31], 2.0, -v[14:15]
	v_fma_f64 v[24:25], v[32:33], 2.0, -v[16:17]
	;; [unrolled: 1-line block ×4, first 2 shown]
	v_add_f64 v[2:3], v[14:15], v[6:7]
	v_fma_f64 v[26:27], v[34:35], 2.0, -v[38:39]
	v_fma_f64 v[28:29], v[36:37], 2.0, -v[40:41]
	;; [unrolled: 1-line block ×4, first 2 shown]
	v_add_f64 v[6:7], v[38:39], v[10:11]
	v_add_f64 v[10:11], v[22:23], -v[12:13]
	v_add_f64 v[12:13], v[24:25], -v[18:19]
	;; [unrolled: 1-line block ×5, first 2 shown]
	v_fma_f64 v[22:23], v[22:23], 2.0, -v[10:11]
	v_fma_f64 v[24:25], v[24:25], 2.0, -v[12:13]
	v_add_f64 v[8:9], v[40:41], -v[42:43]
	v_fma_f64 v[14:15], v[14:15], 2.0, -v[2:3]
	v_fma_f64 v[16:17], v[16:17], 2.0, -v[4:5]
	;; [unrolled: 1-line block ×6, first 2 shown]
	ds_write_b128 v150, v[22:25]
	ds_write_b128 v150, v[14:17] offset:5280
	ds_write_b128 v150, v[10:13] offset:10560
	;; [unrolled: 1-line block ×7, first 2 shown]
	s_waitcnt lgkmcnt(0)
	s_barrier
	s_and_saveexec_b64 s[4:5], s[0:1]
	s_cbranch_execz .LBB0_31
; %bb.30:
	v_mul_lo_u32 v0, s3, v62
	v_mul_lo_u32 v2, s2, v63
	v_mad_u64_u32 v[6:7], s[0:1], s2, v62, 0
	v_add3_u32 v7, v7, v2, v0
	v_lshl_add_u32 v14, v64, 4, 0
	ds_read_b128 v[2:5], v14
	v_lshl_add_u64 v[6:7], v[6:7], 4, s[6:7]
	v_lshl_add_u64 v[10:11], v[60:61], 4, v[6:7]
	ds_read_b128 v[6:9], v14 offset:2640
	v_mov_b32_e32 v65, v1
	v_lshl_add_u64 v[12:13], v[64:65], 4, v[10:11]
	v_add_u32_e32 v0, 0xa5, v64
	s_waitcnt lgkmcnt(1)
	global_store_dwordx4 v[12:13], v[2:5], off
	v_lshl_add_u64 v[12:13], v[0:1], 4, v[10:11]
	ds_read_b128 v[2:5], v14 offset:5280
	s_waitcnt lgkmcnt(1)
	global_store_dwordx4 v[12:13], v[6:9], off
	ds_read_b128 v[6:9], v14 offset:7920
	v_add_u32_e32 v0, 0x14a, v64
	v_lshl_add_u64 v[12:13], v[0:1], 4, v[10:11]
	v_add_u32_e32 v0, 0x1ef, v64
	s_waitcnt lgkmcnt(1)
	global_store_dwordx4 v[12:13], v[2:5], off
	v_lshl_add_u64 v[12:13], v[0:1], 4, v[10:11]
	ds_read_b128 v[2:5], v14 offset:10560
	s_waitcnt lgkmcnt(1)
	global_store_dwordx4 v[12:13], v[6:9], off
	ds_read_b128 v[6:9], v14 offset:13200
	v_add_u32_e32 v0, 0x294, v64
	;; [unrolled: 10-line block ×3, first 2 shown]
	v_lshl_add_u64 v[12:13], v[0:1], 4, v[10:11]
	v_add_u32_e32 v0, 0x483, v64
	v_lshl_add_u64 v[0:1], v[0:1], 4, v[10:11]
	s_waitcnt lgkmcnt(1)
	global_store_dwordx4 v[12:13], v[2:5], off
	s_waitcnt lgkmcnt(0)
	global_store_dwordx4 v[0:1], v[6:9], off
.LBB0_31:
	s_endpgm
	.section	.rodata,"a",@progbits
	.p2align	6, 0x0
	.amdhsa_kernel fft_rtc_back_len1320_factors_11_2_3_5_4_wgs_165_tpt_165_dp_op_CI_CI_unitstride_sbrr_C2R_dirReg
		.amdhsa_group_segment_fixed_size 0
		.amdhsa_private_segment_fixed_size 0
		.amdhsa_kernarg_size 104
		.amdhsa_user_sgpr_count 2
		.amdhsa_user_sgpr_dispatch_ptr 0
		.amdhsa_user_sgpr_queue_ptr 0
		.amdhsa_user_sgpr_kernarg_segment_ptr 1
		.amdhsa_user_sgpr_dispatch_id 0
		.amdhsa_user_sgpr_kernarg_preload_length 0
		.amdhsa_user_sgpr_kernarg_preload_offset 0
		.amdhsa_user_sgpr_private_segment_size 0
		.amdhsa_uses_dynamic_stack 0
		.amdhsa_enable_private_segment 0
		.amdhsa_system_sgpr_workgroup_id_x 1
		.amdhsa_system_sgpr_workgroup_id_y 0
		.amdhsa_system_sgpr_workgroup_id_z 0
		.amdhsa_system_sgpr_workgroup_info 0
		.amdhsa_system_vgpr_workitem_id 0
		.amdhsa_next_free_vgpr 182
		.amdhsa_next_free_sgpr 38
		.amdhsa_accum_offset 184
		.amdhsa_reserve_vcc 1
		.amdhsa_float_round_mode_32 0
		.amdhsa_float_round_mode_16_64 0
		.amdhsa_float_denorm_mode_32 3
		.amdhsa_float_denorm_mode_16_64 3
		.amdhsa_dx10_clamp 1
		.amdhsa_ieee_mode 1
		.amdhsa_fp16_overflow 0
		.amdhsa_tg_split 0
		.amdhsa_exception_fp_ieee_invalid_op 0
		.amdhsa_exception_fp_denorm_src 0
		.amdhsa_exception_fp_ieee_div_zero 0
		.amdhsa_exception_fp_ieee_overflow 0
		.amdhsa_exception_fp_ieee_underflow 0
		.amdhsa_exception_fp_ieee_inexact 0
		.amdhsa_exception_int_div_zero 0
	.end_amdhsa_kernel
	.text
.Lfunc_end0:
	.size	fft_rtc_back_len1320_factors_11_2_3_5_4_wgs_165_tpt_165_dp_op_CI_CI_unitstride_sbrr_C2R_dirReg, .Lfunc_end0-fft_rtc_back_len1320_factors_11_2_3_5_4_wgs_165_tpt_165_dp_op_CI_CI_unitstride_sbrr_C2R_dirReg
                                        ; -- End function
	.section	.AMDGPU.csdata,"",@progbits
; Kernel info:
; codeLenInByte = 9368
; NumSgprs: 44
; NumVgprs: 182
; NumAgprs: 0
; TotalNumVgprs: 182
; ScratchSize: 0
; MemoryBound: 0
; FloatMode: 240
; IeeeMode: 1
; LDSByteSize: 0 bytes/workgroup (compile time only)
; SGPRBlocks: 5
; VGPRBlocks: 22
; NumSGPRsForWavesPerEU: 44
; NumVGPRsForWavesPerEU: 182
; AccumOffset: 184
; Occupancy: 2
; WaveLimiterHint : 1
; COMPUTE_PGM_RSRC2:SCRATCH_EN: 0
; COMPUTE_PGM_RSRC2:USER_SGPR: 2
; COMPUTE_PGM_RSRC2:TRAP_HANDLER: 0
; COMPUTE_PGM_RSRC2:TGID_X_EN: 1
; COMPUTE_PGM_RSRC2:TGID_Y_EN: 0
; COMPUTE_PGM_RSRC2:TGID_Z_EN: 0
; COMPUTE_PGM_RSRC2:TIDIG_COMP_CNT: 0
; COMPUTE_PGM_RSRC3_GFX90A:ACCUM_OFFSET: 45
; COMPUTE_PGM_RSRC3_GFX90A:TG_SPLIT: 0
	.text
	.p2alignl 6, 3212836864
	.fill 256, 4, 3212836864
	.type	__hip_cuid_b3286b4682c363ff,@object ; @__hip_cuid_b3286b4682c363ff
	.section	.bss,"aw",@nobits
	.globl	__hip_cuid_b3286b4682c363ff
__hip_cuid_b3286b4682c363ff:
	.byte	0                               ; 0x0
	.size	__hip_cuid_b3286b4682c363ff, 1

	.ident	"AMD clang version 19.0.0git (https://github.com/RadeonOpenCompute/llvm-project roc-6.4.0 25133 c7fe45cf4b819c5991fe208aaa96edf142730f1d)"
	.section	".note.GNU-stack","",@progbits
	.addrsig
	.addrsig_sym __hip_cuid_b3286b4682c363ff
	.amdgpu_metadata
---
amdhsa.kernels:
  - .agpr_count:     0
    .args:
      - .actual_access:  read_only
        .address_space:  global
        .offset:         0
        .size:           8
        .value_kind:     global_buffer
      - .offset:         8
        .size:           8
        .value_kind:     by_value
      - .actual_access:  read_only
        .address_space:  global
        .offset:         16
        .size:           8
        .value_kind:     global_buffer
      - .actual_access:  read_only
        .address_space:  global
        .offset:         24
        .size:           8
        .value_kind:     global_buffer
      - .actual_access:  read_only
        .address_space:  global
        .offset:         32
        .size:           8
        .value_kind:     global_buffer
      - .offset:         40
        .size:           8
        .value_kind:     by_value
      - .actual_access:  read_only
        .address_space:  global
        .offset:         48
        .size:           8
        .value_kind:     global_buffer
      - .actual_access:  read_only
        .address_space:  global
        .offset:         56
        .size:           8
        .value_kind:     global_buffer
      - .offset:         64
        .size:           4
        .value_kind:     by_value
      - .actual_access:  read_only
        .address_space:  global
        .offset:         72
        .size:           8
        .value_kind:     global_buffer
      - .actual_access:  read_only
        .address_space:  global
        .offset:         80
        .size:           8
        .value_kind:     global_buffer
      - .actual_access:  read_only
        .address_space:  global
        .offset:         88
        .size:           8
        .value_kind:     global_buffer
      - .actual_access:  write_only
        .address_space:  global
        .offset:         96
        .size:           8
        .value_kind:     global_buffer
    .group_segment_fixed_size: 0
    .kernarg_segment_align: 8
    .kernarg_segment_size: 104
    .language:       OpenCL C
    .language_version:
      - 2
      - 0
    .max_flat_workgroup_size: 165
    .name:           fft_rtc_back_len1320_factors_11_2_3_5_4_wgs_165_tpt_165_dp_op_CI_CI_unitstride_sbrr_C2R_dirReg
    .private_segment_fixed_size: 0
    .sgpr_count:     44
    .sgpr_spill_count: 0
    .symbol:         fft_rtc_back_len1320_factors_11_2_3_5_4_wgs_165_tpt_165_dp_op_CI_CI_unitstride_sbrr_C2R_dirReg.kd
    .uniform_work_group_size: 1
    .uses_dynamic_stack: false
    .vgpr_count:     182
    .vgpr_spill_count: 0
    .wavefront_size: 64
amdhsa.target:   amdgcn-amd-amdhsa--gfx950
amdhsa.version:
  - 1
  - 2
...

	.end_amdgpu_metadata
